;; amdgpu-corpus repo=LLNL/RAJAPerf kind=compiled arch=gfx906 opt=O3
	.amdgcn_target "amdgcn-amd-amdhsa--gfx906"
	.amdhsa_code_object_version 6
	.section	.text._ZN8rajaperf4apps11deldotvec2dILm256EEEvPdS2_S2_S2_S2_S2_S2_S2_S2_S2_S2_S2_S2_S2_S2_S2_S2_Plddl,"axG",@progbits,_ZN8rajaperf4apps11deldotvec2dILm256EEEvPdS2_S2_S2_S2_S2_S2_S2_S2_S2_S2_S2_S2_S2_S2_S2_S2_Plddl,comdat
	.protected	_ZN8rajaperf4apps11deldotvec2dILm256EEEvPdS2_S2_S2_S2_S2_S2_S2_S2_S2_S2_S2_S2_S2_S2_S2_S2_Plddl ; -- Begin function _ZN8rajaperf4apps11deldotvec2dILm256EEEvPdS2_S2_S2_S2_S2_S2_S2_S2_S2_S2_S2_S2_S2_S2_S2_S2_Plddl
	.globl	_ZN8rajaperf4apps11deldotvec2dILm256EEEvPdS2_S2_S2_S2_S2_S2_S2_S2_S2_S2_S2_S2_S2_S2_S2_S2_Plddl
	.p2align	8
	.type	_ZN8rajaperf4apps11deldotvec2dILm256EEEvPdS2_S2_S2_S2_S2_S2_S2_S2_S2_S2_S2_S2_S2_S2_S2_S2_Plddl,@function
_ZN8rajaperf4apps11deldotvec2dILm256EEEvPdS2_S2_S2_S2_S2_S2_S2_S2_S2_S2_S2_S2_S2_S2_S2_S2_Plddl: ; @_ZN8rajaperf4apps11deldotvec2dILm256EEEvPdS2_S2_S2_S2_S2_S2_S2_S2_S2_S2_S2_S2_S2_S2_S2_S2_Plddl
; %bb.0:
	s_load_dwordx2 s[0:1], s[4:5], 0xa0
	s_mov_b32 s7, 0
	s_lshl_b64 s[2:3], s[6:7], 8
	v_or_b32_e32 v0, s2, v0
	v_mov_b32_e32 v1, s3
	s_waitcnt lgkmcnt(0)
	v_cmp_gt_i64_e32 vcc, s[0:1], v[0:1]
	s_and_saveexec_b64 s[0:1], vcc
	s_cbranch_execz .LBB0_2
; %bb.1:
	s_load_dwordx8 s[24:31], s[4:5], 0x80
	v_lshlrev_b64 v[0:1], 3, v[0:1]
	s_waitcnt lgkmcnt(0)
	v_mov_b32_e32 v2, s27
	v_add_co_u32_e32 v0, vcc, s26, v0
	v_addc_co_u32_e32 v1, vcc, v2, v1, vcc
	global_load_dwordx2 v[0:1], v[0:1], off
	s_load_dwordx16 s[8:23], s[4:5], 0x0
	s_load_dwordx16 s[36:51], s[4:5], 0x40
	v_mov_b32_e32 v29, s25
	s_waitcnt lgkmcnt(0)
	v_mov_b32_e32 v3, s11
	v_mov_b32_e32 v5, s13
	;; [unrolled: 1-line block ×11, first 2 shown]
	s_waitcnt vmcnt(0)
	v_lshlrev_b64 v[0:1], 3, v[0:1]
	v_add_co_u32_e32 v2, vcc, s10, v0
	v_addc_co_u32_e32 v3, vcc, v3, v1, vcc
	v_add_co_u32_e32 v4, vcc, s12, v0
	v_addc_co_u32_e32 v5, vcc, v5, v1, vcc
	;; [unrolled: 2-line block ×4, first 2 shown]
	global_load_dwordx2 v[16:17], v[2:3], off
	global_load_dwordx2 v[18:19], v[4:5], off
	v_add_co_u32_e32 v10, vcc, s20, v0
	v_addc_co_u32_e32 v11, vcc, v11, v1, vcc
	v_add_co_u32_e32 v12, vcc, s22, v0
	v_addc_co_u32_e32 v13, vcc, v13, v1, vcc
	;; [unrolled: 2-line block ×4, first 2 shown]
	global_load_dwordx2 v[4:5], v[6:7], off
	global_load_dwordx2 v[20:21], v[10:11], off
	;; [unrolled: 1-line block ×3, first 2 shown]
	s_nop 0
	global_load_dwordx2 v[6:7], v[8:9], off
	global_load_dwordx2 v[10:11], v[12:13], off
	v_add_co_u32_e32 v2, vcc, s48, v0
	v_addc_co_u32_e32 v3, vcc, v24, v1, vcc
	v_add_co_u32_e32 v8, vcc, s50, v0
	v_addc_co_u32_e32 v9, vcc, v25, v1, vcc
	global_load_dwordx2 v[12:13], v[14:15], off
	global_load_dwordx2 v[24:25], v[2:3], off
	global_load_dwordx2 v[26:27], v[8:9], off
	v_add_co_u32_e32 v2, vcc, s46, v0
	v_addc_co_u32_e32 v3, vcc, v28, v1, vcc
	v_add_co_u32_e32 v8, vcc, s24, v0
	v_addc_co_u32_e32 v9, vcc, v29, v1, vcc
	global_load_dwordx2 v[14:15], v[2:3], off
	global_load_dwordx2 v[28:29], v[8:9], off
	s_waitcnt vmcnt(10)
	v_add_f64 v[2:3], v[16:17], v[18:19]
	s_waitcnt vmcnt(9)
	v_add_f64 v[8:9], v[18:19], v[4:5]
	v_add_f64 v[2:3], v[2:3], -v[4:5]
	s_waitcnt vmcnt(7)
	v_add_f64 v[4:5], v[22:23], v[20:21]
	s_waitcnt vmcnt(5)
	v_add_f64 v[18:19], v[20:21], v[10:11]
	v_add_f64 v[8:9], v[8:9], -v[6:7]
	v_add_f64 v[2:3], v[2:3], -v[6:7]
	;; [unrolled: 1-line block ×3, first 2 shown]
	s_waitcnt vmcnt(4)
	v_add_f64 v[18:19], v[18:19], -v[12:13]
	v_add_f64 v[4:5], v[4:5], v[10:11]
	v_add_co_u32_e32 v10, vcc, s38, v0
	v_add_f64 v[8:9], v[8:9], -v[16:17]
	s_waitcnt vmcnt(2)
	v_add_f64 v[16:17], v[24:25], v[26:27]
	v_add_f64 v[6:7], v[6:7], -v[12:13]
	v_add_f64 v[18:19], v[18:19], -v[22:23]
	s_waitcnt vmcnt(1)
	v_add_f64 v[20:21], v[14:15], v[24:25]
	v_mul_f64 v[2:3], s[28:29], v[2:3]
	v_mov_b32_e32 v24, s39
	v_addc_co_u32_e32 v11, vcc, v24, v1, vcc
	s_waitcnt vmcnt(0)
	v_add_f64 v[16:17], v[16:17], -v[28:29]
	v_mul_f64 v[8:9], s[28:29], v[8:9]
	v_mul_f64 v[6:7], s[28:29], v[6:7]
	v_add_f64 v[22:23], v[20:21], -v[26:27]
	v_mov_b32_e32 v25, s41
	v_add_f64 v[4:5], v[4:5], v[12:13]
	v_add_f64 v[14:15], v[16:17], -v[14:15]
	v_mul_f64 v[16:17], s[28:29], v[18:19]
	v_mul_f64 v[18:19], v[8:9], v[6:7]
	v_add_f64 v[22:23], v[22:23], -v[28:29]
	v_mul_f64 v[14:15], s[28:29], v[14:15]
	v_fma_f64 v[18:19], v[2:3], v[16:17], -v[18:19]
	v_mul_f64 v[22:23], s[28:29], v[22:23]
	v_add_f64 v[18:19], s[30:31], v[18:19]
	v_mul_f64 v[8:9], v[8:9], v[22:23]
	v_div_scale_f64 v[22:23], s[0:1], v[18:19], v[18:19], 1.0
	v_fma_f64 v[2:3], v[2:3], v[14:15], -v[8:9]
	v_add_f64 v[14:15], v[20:21], v[26:27]
	v_mov_b32_e32 v26, s43
	v_rcp_f64_e32 v[8:9], v[22:23]
	v_fma_f64 v[20:21], -v[22:23], v[8:9], 1.0
	v_fma_f64 v[8:9], v[8:9], v[20:21], v[8:9]
	v_add_co_u32_e32 v20, vcc, s40, v0
	v_addc_co_u32_e32 v21, vcc, v25, v1, vcc
	v_add_co_u32_e32 v24, vcc, s42, v0
	v_addc_co_u32_e32 v25, vcc, v26, v1, vcc
	global_load_dwordx2 v[26:27], v[10:11], off
	global_load_dwordx2 v[30:31], v[20:21], off
	;; [unrolled: 1-line block ×3, first 2 shown]
	v_add_f64 v[10:11], v[14:15], v[28:29]
	v_fma_f64 v[14:15], -v[22:23], v[8:9], 1.0
	v_div_scale_f64 v[20:21], s[0:1], v[4:5], v[4:5], v[10:11]
	v_fma_f64 v[8:9], v[8:9], v[14:15], v[8:9]
	v_div_scale_f64 v[14:15], vcc, 1.0, v[18:19], 1.0
	v_mul_f64 v[12:13], v[14:15], v[8:9]
	v_fma_f64 v[14:15], -v[22:23], v[12:13], v[14:15]
	s_nop 1
	v_div_fmas_f64 v[8:9], v[14:15], v[8:9], v[12:13]
	v_rcp_f64_e32 v[12:13], v[20:21]
	v_div_fixup_f64 v[8:9], v[8:9], v[18:19], 1.0
	v_fma_f64 v[24:25], -v[20:21], v[12:13], 1.0
	v_mul_f64 v[2:3], v[8:9], v[2:3]
	v_fma_f64 v[12:13], v[12:13], v[24:25], v[12:13]
	v_mov_b32_e32 v25, s45
	v_add_co_u32_e32 v24, vcc, s44, v0
	v_addc_co_u32_e32 v25, vcc, v25, v1, vcc
	global_load_dwordx2 v[24:25], v[24:25], off
	s_waitcnt vmcnt(2)
	v_add_f64 v[14:15], v[26:27], v[30:31]
	s_waitcnt vmcnt(1)
	v_add_f64 v[22:23], v[30:31], v[32:33]
	v_add_f64 v[14:15], v[14:15], -v[32:33]
	s_waitcnt vmcnt(0)
	v_add_f64 v[22:23], v[22:23], -v[24:25]
	v_add_f64 v[14:15], v[14:15], -v[24:25]
	;; [unrolled: 1-line block ×3, first 2 shown]
	v_fma_f64 v[26:27], -v[20:21], v[12:13], 1.0
	v_mul_f64 v[14:15], s[28:29], v[14:15]
	v_mul_f64 v[22:23], s[28:29], v[22:23]
	v_fma_f64 v[12:13], v[12:13], v[26:27], v[12:13]
	v_div_scale_f64 v[26:27], vcc, v[10:11], v[4:5], v[10:11]
	v_mul_f64 v[6:7], v[6:7], v[22:23]
	v_fma_f64 v[6:7], v[16:17], v[14:15], -v[6:7]
	v_mul_f64 v[28:29], v[26:27], v[12:13]
	v_fma_f64 v[2:3], v[8:9], v[6:7], v[2:3]
	v_fma_f64 v[20:21], -v[20:21], v[28:29], v[26:27]
	v_div_fmas_f64 v[12:13], v[20:21], v[12:13], v[28:29]
	v_add_co_u32_e32 v0, vcc, s8, v0
	v_div_fixup_f64 v[4:5], v[12:13], v[4:5], v[10:11]
	v_add_f64 v[2:3], v[4:5], v[2:3]
	v_mov_b32_e32 v4, s9
	v_addc_co_u32_e32 v1, vcc, v4, v1, vcc
	global_store_dwordx2 v[0:1], v[2:3], off
.LBB0_2:
	s_endpgm
	.section	.rodata,"a",@progbits
	.p2align	6, 0x0
	.amdhsa_kernel _ZN8rajaperf4apps11deldotvec2dILm256EEEvPdS2_S2_S2_S2_S2_S2_S2_S2_S2_S2_S2_S2_S2_S2_S2_S2_Plddl
		.amdhsa_group_segment_fixed_size 0
		.amdhsa_private_segment_fixed_size 0
		.amdhsa_kernarg_size 168
		.amdhsa_user_sgpr_count 6
		.amdhsa_user_sgpr_private_segment_buffer 1
		.amdhsa_user_sgpr_dispatch_ptr 0
		.amdhsa_user_sgpr_queue_ptr 0
		.amdhsa_user_sgpr_kernarg_segment_ptr 1
		.amdhsa_user_sgpr_dispatch_id 0
		.amdhsa_user_sgpr_flat_scratch_init 0
		.amdhsa_user_sgpr_private_segment_size 0
		.amdhsa_uses_dynamic_stack 0
		.amdhsa_system_sgpr_private_segment_wavefront_offset 0
		.amdhsa_system_sgpr_workgroup_id_x 1
		.amdhsa_system_sgpr_workgroup_id_y 0
		.amdhsa_system_sgpr_workgroup_id_z 0
		.amdhsa_system_sgpr_workgroup_info 0
		.amdhsa_system_vgpr_workitem_id 0
		.amdhsa_next_free_vgpr 34
		.amdhsa_next_free_sgpr 52
		.amdhsa_reserve_vcc 1
		.amdhsa_reserve_flat_scratch 0
		.amdhsa_float_round_mode_32 0
		.amdhsa_float_round_mode_16_64 0
		.amdhsa_float_denorm_mode_32 3
		.amdhsa_float_denorm_mode_16_64 3
		.amdhsa_dx10_clamp 1
		.amdhsa_ieee_mode 1
		.amdhsa_fp16_overflow 0
		.amdhsa_exception_fp_ieee_invalid_op 0
		.amdhsa_exception_fp_denorm_src 0
		.amdhsa_exception_fp_ieee_div_zero 0
		.amdhsa_exception_fp_ieee_overflow 0
		.amdhsa_exception_fp_ieee_underflow 0
		.amdhsa_exception_fp_ieee_inexact 0
		.amdhsa_exception_int_div_zero 0
	.end_amdhsa_kernel
	.section	.text._ZN8rajaperf4apps11deldotvec2dILm256EEEvPdS2_S2_S2_S2_S2_S2_S2_S2_S2_S2_S2_S2_S2_S2_S2_S2_Plddl,"axG",@progbits,_ZN8rajaperf4apps11deldotvec2dILm256EEEvPdS2_S2_S2_S2_S2_S2_S2_S2_S2_S2_S2_S2_S2_S2_S2_S2_Plddl,comdat
.Lfunc_end0:
	.size	_ZN8rajaperf4apps11deldotvec2dILm256EEEvPdS2_S2_S2_S2_S2_S2_S2_S2_S2_S2_S2_S2_S2_S2_S2_S2_Plddl, .Lfunc_end0-_ZN8rajaperf4apps11deldotvec2dILm256EEEvPdS2_S2_S2_S2_S2_S2_S2_S2_S2_S2_S2_S2_S2_S2_S2_S2_Plddl
                                        ; -- End function
	.set _ZN8rajaperf4apps11deldotvec2dILm256EEEvPdS2_S2_S2_S2_S2_S2_S2_S2_S2_S2_S2_S2_S2_S2_S2_S2_Plddl.num_vgpr, 34
	.set _ZN8rajaperf4apps11deldotvec2dILm256EEEvPdS2_S2_S2_S2_S2_S2_S2_S2_S2_S2_S2_S2_S2_S2_S2_S2_Plddl.num_agpr, 0
	.set _ZN8rajaperf4apps11deldotvec2dILm256EEEvPdS2_S2_S2_S2_S2_S2_S2_S2_S2_S2_S2_S2_S2_S2_S2_S2_Plddl.numbered_sgpr, 52
	.set _ZN8rajaperf4apps11deldotvec2dILm256EEEvPdS2_S2_S2_S2_S2_S2_S2_S2_S2_S2_S2_S2_S2_S2_S2_S2_Plddl.num_named_barrier, 0
	.set _ZN8rajaperf4apps11deldotvec2dILm256EEEvPdS2_S2_S2_S2_S2_S2_S2_S2_S2_S2_S2_S2_S2_S2_S2_S2_Plddl.private_seg_size, 0
	.set _ZN8rajaperf4apps11deldotvec2dILm256EEEvPdS2_S2_S2_S2_S2_S2_S2_S2_S2_S2_S2_S2_S2_S2_S2_S2_Plddl.uses_vcc, 1
	.set _ZN8rajaperf4apps11deldotvec2dILm256EEEvPdS2_S2_S2_S2_S2_S2_S2_S2_S2_S2_S2_S2_S2_S2_S2_S2_Plddl.uses_flat_scratch, 0
	.set _ZN8rajaperf4apps11deldotvec2dILm256EEEvPdS2_S2_S2_S2_S2_S2_S2_S2_S2_S2_S2_S2_S2_S2_S2_S2_Plddl.has_dyn_sized_stack, 0
	.set _ZN8rajaperf4apps11deldotvec2dILm256EEEvPdS2_S2_S2_S2_S2_S2_S2_S2_S2_S2_S2_S2_S2_S2_S2_S2_Plddl.has_recursion, 0
	.set _ZN8rajaperf4apps11deldotvec2dILm256EEEvPdS2_S2_S2_S2_S2_S2_S2_S2_S2_S2_S2_S2_S2_S2_S2_S2_Plddl.has_indirect_call, 0
	.section	.AMDGPU.csdata,"",@progbits
; Kernel info:
; codeLenInByte = 1044
; TotalNumSgprs: 56
; NumVgprs: 34
; ScratchSize: 0
; MemoryBound: 0
; FloatMode: 240
; IeeeMode: 1
; LDSByteSize: 0 bytes/workgroup (compile time only)
; SGPRBlocks: 6
; VGPRBlocks: 8
; NumSGPRsForWavesPerEU: 56
; NumVGPRsForWavesPerEU: 34
; Occupancy: 7
; WaveLimiterHint : 1
; COMPUTE_PGM_RSRC2:SCRATCH_EN: 0
; COMPUTE_PGM_RSRC2:USER_SGPR: 6
; COMPUTE_PGM_RSRC2:TRAP_HANDLER: 0
; COMPUTE_PGM_RSRC2:TGID_X_EN: 1
; COMPUTE_PGM_RSRC2:TGID_Y_EN: 0
; COMPUTE_PGM_RSRC2:TGID_Z_EN: 0
; COMPUTE_PGM_RSRC2:TIDIG_COMP_CNT: 0
	.section	.text._ZN8rajaperf17lambda_hip_forallILm256EZNS_4apps14DEL_DOT_VEC_2D17runHipVariantImplILm256EEEvNS_9VariantIDEEUllE_EEvllT0_,"axG",@progbits,_ZN8rajaperf17lambda_hip_forallILm256EZNS_4apps14DEL_DOT_VEC_2D17runHipVariantImplILm256EEEvNS_9VariantIDEEUllE_EEvllT0_,comdat
	.protected	_ZN8rajaperf17lambda_hip_forallILm256EZNS_4apps14DEL_DOT_VEC_2D17runHipVariantImplILm256EEEvNS_9VariantIDEEUllE_EEvllT0_ ; -- Begin function _ZN8rajaperf17lambda_hip_forallILm256EZNS_4apps14DEL_DOT_VEC_2D17runHipVariantImplILm256EEEvNS_9VariantIDEEUllE_EEvllT0_
	.globl	_ZN8rajaperf17lambda_hip_forallILm256EZNS_4apps14DEL_DOT_VEC_2D17runHipVariantImplILm256EEEvNS_9VariantIDEEUllE_EEvllT0_
	.p2align	8
	.type	_ZN8rajaperf17lambda_hip_forallILm256EZNS_4apps14DEL_DOT_VEC_2D17runHipVariantImplILm256EEEvNS_9VariantIDEEUllE_EEvllT0_,@function
_ZN8rajaperf17lambda_hip_forallILm256EZNS_4apps14DEL_DOT_VEC_2D17runHipVariantImplILm256EEEvNS_9VariantIDEEUllE_EEvllT0_: ; @_ZN8rajaperf17lambda_hip_forallILm256EZNS_4apps14DEL_DOT_VEC_2D17runHipVariantImplILm256EEEvNS_9VariantIDEEUllE_EEvllT0_
; %bb.0:
	s_load_dwordx4 s[0:3], s[4:5], 0x0
	s_mov_b32 s7, 0
	s_lshl_b64 s[6:7], s[6:7], 8
	s_waitcnt lgkmcnt(0)
	s_add_u32 s0, s0, s6
	s_addc_u32 s1, s1, s7
	v_mov_b32_e32 v1, s1
	v_add_co_u32_e32 v0, vcc, s0, v0
	v_addc_co_u32_e32 v1, vcc, 0, v1, vcc
	v_cmp_gt_i64_e32 vcc, s[2:3], v[0:1]
	s_and_saveexec_b64 s[0:1], vcc
	s_cbranch_execz .LBB1_2
; %bb.1:
	s_load_dwordx16 s[8:23], s[4:5], 0x10
	v_lshlrev_b64 v[0:1], 3, v[0:1]
	s_waitcnt lgkmcnt(0)
	v_mov_b32_e32 v2, s9
	v_add_co_u32_e32 v0, vcc, s8, v0
	v_addc_co_u32_e32 v1, vcc, v2, v1, vcc
	global_load_dwordx2 v[0:1], v[0:1], off
	v_mov_b32_e32 v3, s13
	v_mov_b32_e32 v5, s15
	;; [unrolled: 1-line block ×3, first 2 shown]
	s_load_dwordx16 s[36:51], s[4:5], 0x50
	s_load_dwordx8 s[24:31], s[4:5], 0x90
	v_mov_b32_e32 v9, s19
	v_mov_b32_e32 v11, s23
	;; [unrolled: 1-line block ×3, first 2 shown]
	s_waitcnt lgkmcnt(0)
	v_mov_b32_e32 v13, s37
	v_mov_b32_e32 v15, s39
	;; [unrolled: 1-line block ×6, first 2 shown]
	s_waitcnt vmcnt(0)
	v_lshlrev_b64 v[0:1], 3, v[0:1]
	v_add_co_u32_e32 v2, vcc, s12, v0
	v_addc_co_u32_e32 v3, vcc, v3, v1, vcc
	v_add_co_u32_e32 v4, vcc, s14, v0
	v_addc_co_u32_e32 v5, vcc, v5, v1, vcc
	v_add_co_u32_e32 v6, vcc, s16, v0
	v_addc_co_u32_e32 v7, vcc, v7, v1, vcc
	v_add_co_u32_e32 v8, vcc, s18, v0
	v_addc_co_u32_e32 v9, vcc, v9, v1, vcc
	global_load_dwordx2 v[16:17], v[2:3], off
	global_load_dwordx2 v[18:19], v[4:5], off
	v_add_co_u32_e32 v10, vcc, s22, v0
	v_addc_co_u32_e32 v11, vcc, v11, v1, vcc
	v_add_co_u32_e32 v12, vcc, s36, v0
	v_addc_co_u32_e32 v13, vcc, v13, v1, vcc
	;; [unrolled: 2-line block ×4, first 2 shown]
	global_load_dwordx2 v[4:5], v[6:7], off
	global_load_dwordx2 v[20:21], v[10:11], off
	;; [unrolled: 1-line block ×3, first 2 shown]
	s_nop 0
	global_load_dwordx2 v[6:7], v[8:9], off
	global_load_dwordx2 v[10:11], v[12:13], off
	v_add_co_u32_e32 v2, vcc, s50, v0
	v_addc_co_u32_e32 v3, vcc, v24, v1, vcc
	v_add_co_u32_e32 v8, vcc, s24, v0
	v_addc_co_u32_e32 v9, vcc, v25, v1, vcc
	global_load_dwordx2 v[12:13], v[14:15], off
	global_load_dwordx2 v[24:25], v[2:3], off
	;; [unrolled: 1-line block ×3, first 2 shown]
	v_add_co_u32_e32 v2, vcc, s48, v0
	v_addc_co_u32_e32 v3, vcc, v28, v1, vcc
	v_add_co_u32_e32 v8, vcc, s26, v0
	v_addc_co_u32_e32 v9, vcc, v29, v1, vcc
	global_load_dwordx2 v[14:15], v[2:3], off
	global_load_dwordx2 v[28:29], v[8:9], off
	s_waitcnt vmcnt(10)
	v_add_f64 v[2:3], v[16:17], v[18:19]
	s_waitcnt vmcnt(9)
	v_add_f64 v[8:9], v[18:19], v[4:5]
	v_add_f64 v[2:3], v[2:3], -v[4:5]
	s_waitcnt vmcnt(7)
	v_add_f64 v[4:5], v[22:23], v[20:21]
	s_waitcnt vmcnt(5)
	v_add_f64 v[18:19], v[20:21], v[10:11]
	v_add_f64 v[8:9], v[8:9], -v[6:7]
	v_add_f64 v[2:3], v[2:3], -v[6:7]
	;; [unrolled: 1-line block ×3, first 2 shown]
	s_waitcnt vmcnt(4)
	v_add_f64 v[18:19], v[18:19], -v[12:13]
	v_add_f64 v[4:5], v[4:5], v[10:11]
	v_add_co_u32_e32 v10, vcc, s40, v0
	v_add_f64 v[8:9], v[8:9], -v[16:17]
	s_waitcnt vmcnt(2)
	v_add_f64 v[16:17], v[24:25], v[26:27]
	v_add_f64 v[6:7], v[6:7], -v[12:13]
	v_add_f64 v[18:19], v[18:19], -v[22:23]
	s_waitcnt vmcnt(1)
	v_add_f64 v[20:21], v[14:15], v[24:25]
	v_mul_f64 v[2:3], s[10:11], v[2:3]
	v_mov_b32_e32 v24, s41
	v_addc_co_u32_e32 v11, vcc, v24, v1, vcc
	s_waitcnt vmcnt(0)
	v_add_f64 v[16:17], v[16:17], -v[28:29]
	v_mul_f64 v[8:9], s[10:11], v[8:9]
	v_mul_f64 v[6:7], s[10:11], v[6:7]
	v_add_f64 v[22:23], v[20:21], -v[26:27]
	v_mov_b32_e32 v25, s43
	v_add_f64 v[4:5], v[4:5], v[12:13]
	v_add_f64 v[14:15], v[16:17], -v[14:15]
	v_mul_f64 v[16:17], s[10:11], v[18:19]
	v_mul_f64 v[18:19], v[8:9], v[6:7]
	v_add_f64 v[22:23], v[22:23], -v[28:29]
	v_mul_f64 v[14:15], s[10:11], v[14:15]
	v_fma_f64 v[18:19], v[2:3], v[16:17], -v[18:19]
	v_mul_f64 v[22:23], s[10:11], v[22:23]
	v_add_f64 v[18:19], s[28:29], v[18:19]
	v_mul_f64 v[8:9], v[8:9], v[22:23]
	v_div_scale_f64 v[22:23], s[0:1], v[18:19], v[18:19], 1.0
	v_fma_f64 v[2:3], v[2:3], v[14:15], -v[8:9]
	v_add_f64 v[14:15], v[20:21], v[26:27]
	v_mov_b32_e32 v26, s45
	v_rcp_f64_e32 v[8:9], v[22:23]
	v_fma_f64 v[20:21], -v[22:23], v[8:9], 1.0
	v_fma_f64 v[8:9], v[8:9], v[20:21], v[8:9]
	v_add_co_u32_e32 v20, vcc, s42, v0
	v_addc_co_u32_e32 v21, vcc, v25, v1, vcc
	v_add_co_u32_e32 v24, vcc, s44, v0
	v_addc_co_u32_e32 v25, vcc, v26, v1, vcc
	global_load_dwordx2 v[26:27], v[10:11], off
	global_load_dwordx2 v[30:31], v[20:21], off
	;; [unrolled: 1-line block ×3, first 2 shown]
	v_add_f64 v[10:11], v[14:15], v[28:29]
	v_fma_f64 v[14:15], -v[22:23], v[8:9], 1.0
	v_div_scale_f64 v[20:21], s[0:1], v[4:5], v[4:5], v[10:11]
	v_fma_f64 v[8:9], v[8:9], v[14:15], v[8:9]
	v_div_scale_f64 v[14:15], vcc, 1.0, v[18:19], 1.0
	v_mul_f64 v[12:13], v[14:15], v[8:9]
	v_fma_f64 v[14:15], -v[22:23], v[12:13], v[14:15]
	s_nop 1
	v_div_fmas_f64 v[8:9], v[14:15], v[8:9], v[12:13]
	v_rcp_f64_e32 v[12:13], v[20:21]
	v_div_fixup_f64 v[8:9], v[8:9], v[18:19], 1.0
	v_fma_f64 v[24:25], -v[20:21], v[12:13], 1.0
	v_mul_f64 v[2:3], v[8:9], v[2:3]
	v_fma_f64 v[12:13], v[12:13], v[24:25], v[12:13]
	v_mov_b32_e32 v25, s47
	v_add_co_u32_e32 v24, vcc, s46, v0
	v_addc_co_u32_e32 v25, vcc, v25, v1, vcc
	global_load_dwordx2 v[24:25], v[24:25], off
	s_waitcnt vmcnt(2)
	v_add_f64 v[14:15], v[26:27], v[30:31]
	s_waitcnt vmcnt(1)
	v_add_f64 v[22:23], v[30:31], v[32:33]
	v_add_f64 v[14:15], v[14:15], -v[32:33]
	s_waitcnt vmcnt(0)
	v_add_f64 v[22:23], v[22:23], -v[24:25]
	v_add_f64 v[14:15], v[14:15], -v[24:25]
	;; [unrolled: 1-line block ×3, first 2 shown]
	v_fma_f64 v[26:27], -v[20:21], v[12:13], 1.0
	v_mul_f64 v[14:15], s[10:11], v[14:15]
	v_mul_f64 v[22:23], s[10:11], v[22:23]
	v_fma_f64 v[12:13], v[12:13], v[26:27], v[12:13]
	v_div_scale_f64 v[26:27], vcc, v[10:11], v[4:5], v[10:11]
	v_mul_f64 v[6:7], v[6:7], v[22:23]
	v_fma_f64 v[6:7], v[16:17], v[14:15], -v[6:7]
	v_mul_f64 v[28:29], v[26:27], v[12:13]
	v_fma_f64 v[2:3], v[8:9], v[6:7], v[2:3]
	v_fma_f64 v[20:21], -v[20:21], v[28:29], v[26:27]
	v_div_fmas_f64 v[12:13], v[20:21], v[12:13], v[28:29]
	v_add_co_u32_e32 v0, vcc, s30, v0
	v_div_fixup_f64 v[4:5], v[12:13], v[4:5], v[10:11]
	v_add_f64 v[2:3], v[4:5], v[2:3]
	v_mov_b32_e32 v4, s31
	v_addc_co_u32_e32 v1, vcc, v4, v1, vcc
	global_store_dwordx2 v[0:1], v[2:3], off
.LBB1_2:
	s_endpgm
	.section	.rodata,"a",@progbits
	.p2align	6, 0x0
	.amdhsa_kernel _ZN8rajaperf17lambda_hip_forallILm256EZNS_4apps14DEL_DOT_VEC_2D17runHipVariantImplILm256EEEvNS_9VariantIDEEUllE_EEvllT0_
		.amdhsa_group_segment_fixed_size 0
		.amdhsa_private_segment_fixed_size 0
		.amdhsa_kernarg_size 176
		.amdhsa_user_sgpr_count 6
		.amdhsa_user_sgpr_private_segment_buffer 1
		.amdhsa_user_sgpr_dispatch_ptr 0
		.amdhsa_user_sgpr_queue_ptr 0
		.amdhsa_user_sgpr_kernarg_segment_ptr 1
		.amdhsa_user_sgpr_dispatch_id 0
		.amdhsa_user_sgpr_flat_scratch_init 0
		.amdhsa_user_sgpr_private_segment_size 0
		.amdhsa_uses_dynamic_stack 0
		.amdhsa_system_sgpr_private_segment_wavefront_offset 0
		.amdhsa_system_sgpr_workgroup_id_x 1
		.amdhsa_system_sgpr_workgroup_id_y 0
		.amdhsa_system_sgpr_workgroup_id_z 0
		.amdhsa_system_sgpr_workgroup_info 0
		.amdhsa_system_vgpr_workitem_id 0
		.amdhsa_next_free_vgpr 34
		.amdhsa_next_free_sgpr 52
		.amdhsa_reserve_vcc 1
		.amdhsa_reserve_flat_scratch 0
		.amdhsa_float_round_mode_32 0
		.amdhsa_float_round_mode_16_64 0
		.amdhsa_float_denorm_mode_32 3
		.amdhsa_float_denorm_mode_16_64 3
		.amdhsa_dx10_clamp 1
		.amdhsa_ieee_mode 1
		.amdhsa_fp16_overflow 0
		.amdhsa_exception_fp_ieee_invalid_op 0
		.amdhsa_exception_fp_denorm_src 0
		.amdhsa_exception_fp_ieee_div_zero 0
		.amdhsa_exception_fp_ieee_overflow 0
		.amdhsa_exception_fp_ieee_underflow 0
		.amdhsa_exception_fp_ieee_inexact 0
		.amdhsa_exception_int_div_zero 0
	.end_amdhsa_kernel
	.section	.text._ZN8rajaperf17lambda_hip_forallILm256EZNS_4apps14DEL_DOT_VEC_2D17runHipVariantImplILm256EEEvNS_9VariantIDEEUllE_EEvllT0_,"axG",@progbits,_ZN8rajaperf17lambda_hip_forallILm256EZNS_4apps14DEL_DOT_VEC_2D17runHipVariantImplILm256EEEvNS_9VariantIDEEUllE_EEvllT0_,comdat
.Lfunc_end1:
	.size	_ZN8rajaperf17lambda_hip_forallILm256EZNS_4apps14DEL_DOT_VEC_2D17runHipVariantImplILm256EEEvNS_9VariantIDEEUllE_EEvllT0_, .Lfunc_end1-_ZN8rajaperf17lambda_hip_forallILm256EZNS_4apps14DEL_DOT_VEC_2D17runHipVariantImplILm256EEEvNS_9VariantIDEEUllE_EEvllT0_
                                        ; -- End function
	.set _ZN8rajaperf17lambda_hip_forallILm256EZNS_4apps14DEL_DOT_VEC_2D17runHipVariantImplILm256EEEvNS_9VariantIDEEUllE_EEvllT0_.num_vgpr, 34
	.set _ZN8rajaperf17lambda_hip_forallILm256EZNS_4apps14DEL_DOT_VEC_2D17runHipVariantImplILm256EEEvNS_9VariantIDEEUllE_EEvllT0_.num_agpr, 0
	.set _ZN8rajaperf17lambda_hip_forallILm256EZNS_4apps14DEL_DOT_VEC_2D17runHipVariantImplILm256EEEvNS_9VariantIDEEUllE_EEvllT0_.numbered_sgpr, 52
	.set _ZN8rajaperf17lambda_hip_forallILm256EZNS_4apps14DEL_DOT_VEC_2D17runHipVariantImplILm256EEEvNS_9VariantIDEEUllE_EEvllT0_.num_named_barrier, 0
	.set _ZN8rajaperf17lambda_hip_forallILm256EZNS_4apps14DEL_DOT_VEC_2D17runHipVariantImplILm256EEEvNS_9VariantIDEEUllE_EEvllT0_.private_seg_size, 0
	.set _ZN8rajaperf17lambda_hip_forallILm256EZNS_4apps14DEL_DOT_VEC_2D17runHipVariantImplILm256EEEvNS_9VariantIDEEUllE_EEvllT0_.uses_vcc, 1
	.set _ZN8rajaperf17lambda_hip_forallILm256EZNS_4apps14DEL_DOT_VEC_2D17runHipVariantImplILm256EEEvNS_9VariantIDEEUllE_EEvllT0_.uses_flat_scratch, 0
	.set _ZN8rajaperf17lambda_hip_forallILm256EZNS_4apps14DEL_DOT_VEC_2D17runHipVariantImplILm256EEEvNS_9VariantIDEEUllE_EEvllT0_.has_dyn_sized_stack, 0
	.set _ZN8rajaperf17lambda_hip_forallILm256EZNS_4apps14DEL_DOT_VEC_2D17runHipVariantImplILm256EEEvNS_9VariantIDEEUllE_EEvllT0_.has_recursion, 0
	.set _ZN8rajaperf17lambda_hip_forallILm256EZNS_4apps14DEL_DOT_VEC_2D17runHipVariantImplILm256EEEvNS_9VariantIDEEUllE_EEvllT0_.has_indirect_call, 0
	.section	.AMDGPU.csdata,"",@progbits
; Kernel info:
; codeLenInByte = 1056
; TotalNumSgprs: 56
; NumVgprs: 34
; ScratchSize: 0
; MemoryBound: 0
; FloatMode: 240
; IeeeMode: 1
; LDSByteSize: 0 bytes/workgroup (compile time only)
; SGPRBlocks: 6
; VGPRBlocks: 8
; NumSGPRsForWavesPerEU: 56
; NumVGPRsForWavesPerEU: 34
; Occupancy: 7
; WaveLimiterHint : 1
; COMPUTE_PGM_RSRC2:SCRATCH_EN: 0
; COMPUTE_PGM_RSRC2:USER_SGPR: 6
; COMPUTE_PGM_RSRC2:TRAP_HANDLER: 0
; COMPUTE_PGM_RSRC2:TGID_X_EN: 1
; COMPUTE_PGM_RSRC2:TGID_Y_EN: 0
; COMPUTE_PGM_RSRC2:TGID_Z_EN: 0
; COMPUTE_PGM_RSRC2:TIDIG_COMP_CNT: 0
	.section	.text._ZN4RAJA6policy3hip4impl18forallp_hip_kernelINS1_8hip_execINS_17iteration_mapping6DirectENS_3hip11IndexGlobalILNS_9named_dimE0ELi256ELi0EEENS7_40AvoidDeviceMaxThreadOccupancyConcretizerINS7_34FractionOffsetOccupancyConcretizerINS_8FractionImLm1ELm1EEELln1EEEEELb1EEEPlZN8rajaperf4apps14DEL_DOT_VEC_2D17runHipVariantImplILm256EEEvNSJ_9VariantIDEEUllE0_lNS_4expt15ForallParamPackIJEEES6_SA_TnNSt9enable_ifIXaasr3std10is_base_ofINS5_10DirectBaseET4_EE5valuegtsrT5_10block_sizeLi0EEmE4typeELm256EEEvT1_T0_T2_T3_,"axG",@progbits,_ZN4RAJA6policy3hip4impl18forallp_hip_kernelINS1_8hip_execINS_17iteration_mapping6DirectENS_3hip11IndexGlobalILNS_9named_dimE0ELi256ELi0EEENS7_40AvoidDeviceMaxThreadOccupancyConcretizerINS7_34FractionOffsetOccupancyConcretizerINS_8FractionImLm1ELm1EEELln1EEEEELb1EEEPlZN8rajaperf4apps14DEL_DOT_VEC_2D17runHipVariantImplILm256EEEvNSJ_9VariantIDEEUllE0_lNS_4expt15ForallParamPackIJEEES6_SA_TnNSt9enable_ifIXaasr3std10is_base_ofINS5_10DirectBaseET4_EE5valuegtsrT5_10block_sizeLi0EEmE4typeELm256EEEvT1_T0_T2_T3_,comdat
	.protected	_ZN4RAJA6policy3hip4impl18forallp_hip_kernelINS1_8hip_execINS_17iteration_mapping6DirectENS_3hip11IndexGlobalILNS_9named_dimE0ELi256ELi0EEENS7_40AvoidDeviceMaxThreadOccupancyConcretizerINS7_34FractionOffsetOccupancyConcretizerINS_8FractionImLm1ELm1EEELln1EEEEELb1EEEPlZN8rajaperf4apps14DEL_DOT_VEC_2D17runHipVariantImplILm256EEEvNSJ_9VariantIDEEUllE0_lNS_4expt15ForallParamPackIJEEES6_SA_TnNSt9enable_ifIXaasr3std10is_base_ofINS5_10DirectBaseET4_EE5valuegtsrT5_10block_sizeLi0EEmE4typeELm256EEEvT1_T0_T2_T3_ ; -- Begin function _ZN4RAJA6policy3hip4impl18forallp_hip_kernelINS1_8hip_execINS_17iteration_mapping6DirectENS_3hip11IndexGlobalILNS_9named_dimE0ELi256ELi0EEENS7_40AvoidDeviceMaxThreadOccupancyConcretizerINS7_34FractionOffsetOccupancyConcretizerINS_8FractionImLm1ELm1EEELln1EEEEELb1EEEPlZN8rajaperf4apps14DEL_DOT_VEC_2D17runHipVariantImplILm256EEEvNSJ_9VariantIDEEUllE0_lNS_4expt15ForallParamPackIJEEES6_SA_TnNSt9enable_ifIXaasr3std10is_base_ofINS5_10DirectBaseET4_EE5valuegtsrT5_10block_sizeLi0EEmE4typeELm256EEEvT1_T0_T2_T3_
	.globl	_ZN4RAJA6policy3hip4impl18forallp_hip_kernelINS1_8hip_execINS_17iteration_mapping6DirectENS_3hip11IndexGlobalILNS_9named_dimE0ELi256ELi0EEENS7_40AvoidDeviceMaxThreadOccupancyConcretizerINS7_34FractionOffsetOccupancyConcretizerINS_8FractionImLm1ELm1EEELln1EEEEELb1EEEPlZN8rajaperf4apps14DEL_DOT_VEC_2D17runHipVariantImplILm256EEEvNSJ_9VariantIDEEUllE0_lNS_4expt15ForallParamPackIJEEES6_SA_TnNSt9enable_ifIXaasr3std10is_base_ofINS5_10DirectBaseET4_EE5valuegtsrT5_10block_sizeLi0EEmE4typeELm256EEEvT1_T0_T2_T3_
	.p2align	8
	.type	_ZN4RAJA6policy3hip4impl18forallp_hip_kernelINS1_8hip_execINS_17iteration_mapping6DirectENS_3hip11IndexGlobalILNS_9named_dimE0ELi256ELi0EEENS7_40AvoidDeviceMaxThreadOccupancyConcretizerINS7_34FractionOffsetOccupancyConcretizerINS_8FractionImLm1ELm1EEELln1EEEEELb1EEEPlZN8rajaperf4apps14DEL_DOT_VEC_2D17runHipVariantImplILm256EEEvNSJ_9VariantIDEEUllE0_lNS_4expt15ForallParamPackIJEEES6_SA_TnNSt9enable_ifIXaasr3std10is_base_ofINS5_10DirectBaseET4_EE5valuegtsrT5_10block_sizeLi0EEmE4typeELm256EEEvT1_T0_T2_T3_,@function
_ZN4RAJA6policy3hip4impl18forallp_hip_kernelINS1_8hip_execINS_17iteration_mapping6DirectENS_3hip11IndexGlobalILNS_9named_dimE0ELi256ELi0EEENS7_40AvoidDeviceMaxThreadOccupancyConcretizerINS7_34FractionOffsetOccupancyConcretizerINS_8FractionImLm1ELm1EEELln1EEEEELb1EEEPlZN8rajaperf4apps14DEL_DOT_VEC_2D17runHipVariantImplILm256EEEvNSJ_9VariantIDEEUllE0_lNS_4expt15ForallParamPackIJEEES6_SA_TnNSt9enable_ifIXaasr3std10is_base_ofINS5_10DirectBaseET4_EE5valuegtsrT5_10block_sizeLi0EEmE4typeELm256EEEvT1_T0_T2_T3_: ; @_ZN4RAJA6policy3hip4impl18forallp_hip_kernelINS1_8hip_execINS_17iteration_mapping6DirectENS_3hip11IndexGlobalILNS_9named_dimE0ELi256ELi0EEENS7_40AvoidDeviceMaxThreadOccupancyConcretizerINS7_34FractionOffsetOccupancyConcretizerINS_8FractionImLm1ELm1EEELln1EEEEELb1EEEPlZN8rajaperf4apps14DEL_DOT_VEC_2D17runHipVariantImplILm256EEEvNSJ_9VariantIDEEUllE0_lNS_4expt15ForallParamPackIJEEES6_SA_TnNSt9enable_ifIXaasr3std10is_base_ofINS5_10DirectBaseET4_EE5valuegtsrT5_10block_sizeLi0EEmE4typeELm256EEEvT1_T0_T2_T3_
; %bb.0:
	s_load_dwordx4 s[0:3], s[4:5], 0x98
	s_mov_b32 s7, 0
	s_lshl_b64 s[6:7], s[6:7], 8
	v_or_b32_e32 v0, s6, v0
	v_mov_b32_e32 v1, s7
	s_waitcnt lgkmcnt(0)
	v_cmp_gt_i64_e32 vcc, s[2:3], v[0:1]
	s_and_saveexec_b64 s[2:3], vcc
	s_cbranch_execz .LBB2_2
; %bb.1:
	v_lshlrev_b64 v[0:1], 3, v[0:1]
	v_mov_b32_e32 v2, s1
	v_add_co_u32_e32 v0, vcc, s0, v0
	v_addc_co_u32_e32 v1, vcc, v2, v1, vcc
	global_load_dwordx2 v[0:1], v[0:1], off
	s_load_dwordx16 s[8:23], s[4:5], 0x0
	s_load_dwordx16 s[36:51], s[4:5], 0x40
	s_load_dwordx4 s[0:3], s[4:5], 0x80
	s_load_dwordx2 s[6:7], s[4:5], 0x90
	s_waitcnt lgkmcnt(0)
	v_mov_b32_e32 v3, s11
	v_mov_b32_e32 v5, s13
	;; [unrolled: 1-line block ×12, first 2 shown]
	s_waitcnt vmcnt(0)
	v_lshlrev_b64 v[0:1], 3, v[0:1]
	v_add_co_u32_e32 v2, vcc, s10, v0
	v_addc_co_u32_e32 v3, vcc, v3, v1, vcc
	v_add_co_u32_e32 v4, vcc, s12, v0
	v_addc_co_u32_e32 v5, vcc, v5, v1, vcc
	v_add_co_u32_e32 v6, vcc, s14, v0
	v_addc_co_u32_e32 v7, vcc, v7, v1, vcc
	v_add_co_u32_e32 v8, vcc, s16, v0
	v_addc_co_u32_e32 v9, vcc, v9, v1, vcc
	global_load_dwordx2 v[16:17], v[2:3], off
	global_load_dwordx2 v[18:19], v[4:5], off
	v_add_co_u32_e32 v10, vcc, s20, v0
	v_addc_co_u32_e32 v11, vcc, v11, v1, vcc
	v_add_co_u32_e32 v12, vcc, s22, v0
	v_addc_co_u32_e32 v13, vcc, v13, v1, vcc
	;; [unrolled: 2-line block ×4, first 2 shown]
	global_load_dwordx2 v[4:5], v[6:7], off
	global_load_dwordx2 v[20:21], v[10:11], off
	global_load_dwordx2 v[22:23], v[2:3], off
	s_nop 0
	global_load_dwordx2 v[6:7], v[8:9], off
	global_load_dwordx2 v[10:11], v[12:13], off
	v_add_co_u32_e32 v2, vcc, s48, v0
	v_addc_co_u32_e32 v3, vcc, v24, v1, vcc
	v_add_co_u32_e32 v8, vcc, s50, v0
	v_addc_co_u32_e32 v9, vcc, v25, v1, vcc
	global_load_dwordx2 v[12:13], v[14:15], off
	global_load_dwordx2 v[24:25], v[2:3], off
	;; [unrolled: 1-line block ×3, first 2 shown]
	v_add_co_u32_e32 v2, vcc, s46, v0
	v_addc_co_u32_e32 v3, vcc, v28, v1, vcc
	v_add_co_u32_e32 v8, vcc, s0, v0
	v_addc_co_u32_e32 v9, vcc, v29, v1, vcc
	global_load_dwordx2 v[14:15], v[2:3], off
	global_load_dwordx2 v[28:29], v[8:9], off
	s_waitcnt vmcnt(10)
	v_add_f64 v[2:3], v[16:17], v[18:19]
	s_waitcnt vmcnt(9)
	v_add_f64 v[8:9], v[18:19], v[4:5]
	v_add_f64 v[2:3], v[2:3], -v[4:5]
	s_waitcnt vmcnt(7)
	v_add_f64 v[4:5], v[22:23], v[20:21]
	s_waitcnt vmcnt(5)
	v_add_f64 v[18:19], v[20:21], v[10:11]
	v_add_f64 v[8:9], v[8:9], -v[6:7]
	v_add_f64 v[2:3], v[2:3], -v[6:7]
	;; [unrolled: 1-line block ×3, first 2 shown]
	s_waitcnt vmcnt(4)
	v_add_f64 v[18:19], v[18:19], -v[12:13]
	v_add_f64 v[4:5], v[4:5], v[10:11]
	v_add_co_u32_e32 v10, vcc, s38, v0
	v_add_f64 v[8:9], v[8:9], -v[16:17]
	s_waitcnt vmcnt(2)
	v_add_f64 v[16:17], v[24:25], v[26:27]
	v_add_f64 v[6:7], v[6:7], -v[12:13]
	v_add_f64 v[18:19], v[18:19], -v[22:23]
	s_waitcnt vmcnt(1)
	v_add_f64 v[20:21], v[14:15], v[24:25]
	v_mul_f64 v[2:3], s[8:9], v[2:3]
	v_mov_b32_e32 v24, s39
	v_addc_co_u32_e32 v11, vcc, v24, v1, vcc
	s_waitcnt vmcnt(0)
	v_add_f64 v[16:17], v[16:17], -v[28:29]
	v_mul_f64 v[8:9], s[8:9], v[8:9]
	v_mul_f64 v[6:7], s[8:9], v[6:7]
	v_add_f64 v[22:23], v[20:21], -v[26:27]
	v_mov_b32_e32 v25, s41
	v_add_f64 v[4:5], v[4:5], v[12:13]
	v_add_f64 v[14:15], v[16:17], -v[14:15]
	v_mul_f64 v[16:17], s[8:9], v[18:19]
	v_mul_f64 v[18:19], v[8:9], v[6:7]
	v_add_f64 v[22:23], v[22:23], -v[28:29]
	v_mul_f64 v[14:15], s[8:9], v[14:15]
	v_fma_f64 v[18:19], v[2:3], v[16:17], -v[18:19]
	v_mul_f64 v[22:23], s[8:9], v[22:23]
	v_add_f64 v[18:19], s[2:3], v[18:19]
	v_mul_f64 v[8:9], v[8:9], v[22:23]
	v_div_scale_f64 v[22:23], s[0:1], v[18:19], v[18:19], 1.0
	v_fma_f64 v[2:3], v[2:3], v[14:15], -v[8:9]
	v_add_f64 v[14:15], v[20:21], v[26:27]
	v_mov_b32_e32 v26, s43
	v_rcp_f64_e32 v[8:9], v[22:23]
	v_fma_f64 v[20:21], -v[22:23], v[8:9], 1.0
	v_fma_f64 v[8:9], v[8:9], v[20:21], v[8:9]
	v_add_co_u32_e32 v20, vcc, s40, v0
	v_addc_co_u32_e32 v21, vcc, v25, v1, vcc
	v_add_co_u32_e32 v24, vcc, s42, v0
	v_addc_co_u32_e32 v25, vcc, v26, v1, vcc
	global_load_dwordx2 v[26:27], v[10:11], off
	global_load_dwordx2 v[30:31], v[20:21], off
	;; [unrolled: 1-line block ×3, first 2 shown]
	v_add_f64 v[10:11], v[14:15], v[28:29]
	v_fma_f64 v[14:15], -v[22:23], v[8:9], 1.0
	v_div_scale_f64 v[20:21], s[0:1], v[4:5], v[4:5], v[10:11]
	v_fma_f64 v[8:9], v[8:9], v[14:15], v[8:9]
	v_div_scale_f64 v[14:15], vcc, 1.0, v[18:19], 1.0
	v_mul_f64 v[12:13], v[14:15], v[8:9]
	v_fma_f64 v[14:15], -v[22:23], v[12:13], v[14:15]
	s_nop 1
	v_div_fmas_f64 v[8:9], v[14:15], v[8:9], v[12:13]
	v_rcp_f64_e32 v[12:13], v[20:21]
	v_div_fixup_f64 v[8:9], v[8:9], v[18:19], 1.0
	v_fma_f64 v[24:25], -v[20:21], v[12:13], 1.0
	v_mul_f64 v[2:3], v[8:9], v[2:3]
	v_fma_f64 v[12:13], v[12:13], v[24:25], v[12:13]
	v_mov_b32_e32 v25, s45
	v_add_co_u32_e32 v24, vcc, s44, v0
	v_addc_co_u32_e32 v25, vcc, v25, v1, vcc
	global_load_dwordx2 v[24:25], v[24:25], off
	s_waitcnt vmcnt(2)
	v_add_f64 v[14:15], v[26:27], v[30:31]
	s_waitcnt vmcnt(1)
	v_add_f64 v[22:23], v[30:31], v[32:33]
	v_add_f64 v[14:15], v[14:15], -v[32:33]
	s_waitcnt vmcnt(0)
	v_add_f64 v[22:23], v[22:23], -v[24:25]
	v_add_f64 v[14:15], v[14:15], -v[24:25]
	;; [unrolled: 1-line block ×3, first 2 shown]
	v_fma_f64 v[26:27], -v[20:21], v[12:13], 1.0
	v_mul_f64 v[14:15], s[8:9], v[14:15]
	v_mul_f64 v[22:23], s[8:9], v[22:23]
	v_fma_f64 v[12:13], v[12:13], v[26:27], v[12:13]
	v_div_scale_f64 v[26:27], vcc, v[10:11], v[4:5], v[10:11]
	v_mul_f64 v[6:7], v[6:7], v[22:23]
	v_fma_f64 v[6:7], v[16:17], v[14:15], -v[6:7]
	v_mul_f64 v[28:29], v[26:27], v[12:13]
	v_fma_f64 v[2:3], v[8:9], v[6:7], v[2:3]
	v_fma_f64 v[20:21], -v[20:21], v[28:29], v[26:27]
	v_div_fmas_f64 v[12:13], v[20:21], v[12:13], v[28:29]
	v_add_co_u32_e32 v0, vcc, s6, v0
	v_div_fixup_f64 v[4:5], v[12:13], v[4:5], v[10:11]
	v_add_f64 v[2:3], v[4:5], v[2:3]
	v_mov_b32_e32 v4, s7
	v_addc_co_u32_e32 v1, vcc, v4, v1, vcc
	global_store_dwordx2 v[0:1], v[2:3], off
.LBB2_2:
	s_endpgm
	.section	.rodata,"a",@progbits
	.p2align	6, 0x0
	.amdhsa_kernel _ZN4RAJA6policy3hip4impl18forallp_hip_kernelINS1_8hip_execINS_17iteration_mapping6DirectENS_3hip11IndexGlobalILNS_9named_dimE0ELi256ELi0EEENS7_40AvoidDeviceMaxThreadOccupancyConcretizerINS7_34FractionOffsetOccupancyConcretizerINS_8FractionImLm1ELm1EEELln1EEEEELb1EEEPlZN8rajaperf4apps14DEL_DOT_VEC_2D17runHipVariantImplILm256EEEvNSJ_9VariantIDEEUllE0_lNS_4expt15ForallParamPackIJEEES6_SA_TnNSt9enable_ifIXaasr3std10is_base_ofINS5_10DirectBaseET4_EE5valuegtsrT5_10block_sizeLi0EEmE4typeELm256EEEvT1_T0_T2_T3_
		.amdhsa_group_segment_fixed_size 0
		.amdhsa_private_segment_fixed_size 0
		.amdhsa_kernarg_size 172
		.amdhsa_user_sgpr_count 6
		.amdhsa_user_sgpr_private_segment_buffer 1
		.amdhsa_user_sgpr_dispatch_ptr 0
		.amdhsa_user_sgpr_queue_ptr 0
		.amdhsa_user_sgpr_kernarg_segment_ptr 1
		.amdhsa_user_sgpr_dispatch_id 0
		.amdhsa_user_sgpr_flat_scratch_init 0
		.amdhsa_user_sgpr_private_segment_size 0
		.amdhsa_uses_dynamic_stack 0
		.amdhsa_system_sgpr_private_segment_wavefront_offset 0
		.amdhsa_system_sgpr_workgroup_id_x 1
		.amdhsa_system_sgpr_workgroup_id_y 0
		.amdhsa_system_sgpr_workgroup_id_z 0
		.amdhsa_system_sgpr_workgroup_info 0
		.amdhsa_system_vgpr_workitem_id 0
		.amdhsa_next_free_vgpr 34
		.amdhsa_next_free_sgpr 52
		.amdhsa_reserve_vcc 1
		.amdhsa_reserve_flat_scratch 0
		.amdhsa_float_round_mode_32 0
		.amdhsa_float_round_mode_16_64 0
		.amdhsa_float_denorm_mode_32 3
		.amdhsa_float_denorm_mode_16_64 3
		.amdhsa_dx10_clamp 1
		.amdhsa_ieee_mode 1
		.amdhsa_fp16_overflow 0
		.amdhsa_exception_fp_ieee_invalid_op 0
		.amdhsa_exception_fp_denorm_src 0
		.amdhsa_exception_fp_ieee_div_zero 0
		.amdhsa_exception_fp_ieee_overflow 0
		.amdhsa_exception_fp_ieee_underflow 0
		.amdhsa_exception_fp_ieee_inexact 0
		.amdhsa_exception_int_div_zero 0
	.end_amdhsa_kernel
	.section	.text._ZN4RAJA6policy3hip4impl18forallp_hip_kernelINS1_8hip_execINS_17iteration_mapping6DirectENS_3hip11IndexGlobalILNS_9named_dimE0ELi256ELi0EEENS7_40AvoidDeviceMaxThreadOccupancyConcretizerINS7_34FractionOffsetOccupancyConcretizerINS_8FractionImLm1ELm1EEELln1EEEEELb1EEEPlZN8rajaperf4apps14DEL_DOT_VEC_2D17runHipVariantImplILm256EEEvNSJ_9VariantIDEEUllE0_lNS_4expt15ForallParamPackIJEEES6_SA_TnNSt9enable_ifIXaasr3std10is_base_ofINS5_10DirectBaseET4_EE5valuegtsrT5_10block_sizeLi0EEmE4typeELm256EEEvT1_T0_T2_T3_,"axG",@progbits,_ZN4RAJA6policy3hip4impl18forallp_hip_kernelINS1_8hip_execINS_17iteration_mapping6DirectENS_3hip11IndexGlobalILNS_9named_dimE0ELi256ELi0EEENS7_40AvoidDeviceMaxThreadOccupancyConcretizerINS7_34FractionOffsetOccupancyConcretizerINS_8FractionImLm1ELm1EEELln1EEEEELb1EEEPlZN8rajaperf4apps14DEL_DOT_VEC_2D17runHipVariantImplILm256EEEvNSJ_9VariantIDEEUllE0_lNS_4expt15ForallParamPackIJEEES6_SA_TnNSt9enable_ifIXaasr3std10is_base_ofINS5_10DirectBaseET4_EE5valuegtsrT5_10block_sizeLi0EEmE4typeELm256EEEvT1_T0_T2_T3_,comdat
.Lfunc_end2:
	.size	_ZN4RAJA6policy3hip4impl18forallp_hip_kernelINS1_8hip_execINS_17iteration_mapping6DirectENS_3hip11IndexGlobalILNS_9named_dimE0ELi256ELi0EEENS7_40AvoidDeviceMaxThreadOccupancyConcretizerINS7_34FractionOffsetOccupancyConcretizerINS_8FractionImLm1ELm1EEELln1EEEEELb1EEEPlZN8rajaperf4apps14DEL_DOT_VEC_2D17runHipVariantImplILm256EEEvNSJ_9VariantIDEEUllE0_lNS_4expt15ForallParamPackIJEEES6_SA_TnNSt9enable_ifIXaasr3std10is_base_ofINS5_10DirectBaseET4_EE5valuegtsrT5_10block_sizeLi0EEmE4typeELm256EEEvT1_T0_T2_T3_, .Lfunc_end2-_ZN4RAJA6policy3hip4impl18forallp_hip_kernelINS1_8hip_execINS_17iteration_mapping6DirectENS_3hip11IndexGlobalILNS_9named_dimE0ELi256ELi0EEENS7_40AvoidDeviceMaxThreadOccupancyConcretizerINS7_34FractionOffsetOccupancyConcretizerINS_8FractionImLm1ELm1EEELln1EEEEELb1EEEPlZN8rajaperf4apps14DEL_DOT_VEC_2D17runHipVariantImplILm256EEEvNSJ_9VariantIDEEUllE0_lNS_4expt15ForallParamPackIJEEES6_SA_TnNSt9enable_ifIXaasr3std10is_base_ofINS5_10DirectBaseET4_EE5valuegtsrT5_10block_sizeLi0EEmE4typeELm256EEEvT1_T0_T2_T3_
                                        ; -- End function
	.set _ZN4RAJA6policy3hip4impl18forallp_hip_kernelINS1_8hip_execINS_17iteration_mapping6DirectENS_3hip11IndexGlobalILNS_9named_dimE0ELi256ELi0EEENS7_40AvoidDeviceMaxThreadOccupancyConcretizerINS7_34FractionOffsetOccupancyConcretizerINS_8FractionImLm1ELm1EEELln1EEEEELb1EEEPlZN8rajaperf4apps14DEL_DOT_VEC_2D17runHipVariantImplILm256EEEvNSJ_9VariantIDEEUllE0_lNS_4expt15ForallParamPackIJEEES6_SA_TnNSt9enable_ifIXaasr3std10is_base_ofINS5_10DirectBaseET4_EE5valuegtsrT5_10block_sizeLi0EEmE4typeELm256EEEvT1_T0_T2_T3_.num_vgpr, 34
	.set _ZN4RAJA6policy3hip4impl18forallp_hip_kernelINS1_8hip_execINS_17iteration_mapping6DirectENS_3hip11IndexGlobalILNS_9named_dimE0ELi256ELi0EEENS7_40AvoidDeviceMaxThreadOccupancyConcretizerINS7_34FractionOffsetOccupancyConcretizerINS_8FractionImLm1ELm1EEELln1EEEEELb1EEEPlZN8rajaperf4apps14DEL_DOT_VEC_2D17runHipVariantImplILm256EEEvNSJ_9VariantIDEEUllE0_lNS_4expt15ForallParamPackIJEEES6_SA_TnNSt9enable_ifIXaasr3std10is_base_ofINS5_10DirectBaseET4_EE5valuegtsrT5_10block_sizeLi0EEmE4typeELm256EEEvT1_T0_T2_T3_.num_agpr, 0
	.set _ZN4RAJA6policy3hip4impl18forallp_hip_kernelINS1_8hip_execINS_17iteration_mapping6DirectENS_3hip11IndexGlobalILNS_9named_dimE0ELi256ELi0EEENS7_40AvoidDeviceMaxThreadOccupancyConcretizerINS7_34FractionOffsetOccupancyConcretizerINS_8FractionImLm1ELm1EEELln1EEEEELb1EEEPlZN8rajaperf4apps14DEL_DOT_VEC_2D17runHipVariantImplILm256EEEvNSJ_9VariantIDEEUllE0_lNS_4expt15ForallParamPackIJEEES6_SA_TnNSt9enable_ifIXaasr3std10is_base_ofINS5_10DirectBaseET4_EE5valuegtsrT5_10block_sizeLi0EEmE4typeELm256EEEvT1_T0_T2_T3_.numbered_sgpr, 52
	.set _ZN4RAJA6policy3hip4impl18forallp_hip_kernelINS1_8hip_execINS_17iteration_mapping6DirectENS_3hip11IndexGlobalILNS_9named_dimE0ELi256ELi0EEENS7_40AvoidDeviceMaxThreadOccupancyConcretizerINS7_34FractionOffsetOccupancyConcretizerINS_8FractionImLm1ELm1EEELln1EEEEELb1EEEPlZN8rajaperf4apps14DEL_DOT_VEC_2D17runHipVariantImplILm256EEEvNSJ_9VariantIDEEUllE0_lNS_4expt15ForallParamPackIJEEES6_SA_TnNSt9enable_ifIXaasr3std10is_base_ofINS5_10DirectBaseET4_EE5valuegtsrT5_10block_sizeLi0EEmE4typeELm256EEEvT1_T0_T2_T3_.num_named_barrier, 0
	.set _ZN4RAJA6policy3hip4impl18forallp_hip_kernelINS1_8hip_execINS_17iteration_mapping6DirectENS_3hip11IndexGlobalILNS_9named_dimE0ELi256ELi0EEENS7_40AvoidDeviceMaxThreadOccupancyConcretizerINS7_34FractionOffsetOccupancyConcretizerINS_8FractionImLm1ELm1EEELln1EEEEELb1EEEPlZN8rajaperf4apps14DEL_DOT_VEC_2D17runHipVariantImplILm256EEEvNSJ_9VariantIDEEUllE0_lNS_4expt15ForallParamPackIJEEES6_SA_TnNSt9enable_ifIXaasr3std10is_base_ofINS5_10DirectBaseET4_EE5valuegtsrT5_10block_sizeLi0EEmE4typeELm256EEEvT1_T0_T2_T3_.private_seg_size, 0
	.set _ZN4RAJA6policy3hip4impl18forallp_hip_kernelINS1_8hip_execINS_17iteration_mapping6DirectENS_3hip11IndexGlobalILNS_9named_dimE0ELi256ELi0EEENS7_40AvoidDeviceMaxThreadOccupancyConcretizerINS7_34FractionOffsetOccupancyConcretizerINS_8FractionImLm1ELm1EEELln1EEEEELb1EEEPlZN8rajaperf4apps14DEL_DOT_VEC_2D17runHipVariantImplILm256EEEvNSJ_9VariantIDEEUllE0_lNS_4expt15ForallParamPackIJEEES6_SA_TnNSt9enable_ifIXaasr3std10is_base_ofINS5_10DirectBaseET4_EE5valuegtsrT5_10block_sizeLi0EEmE4typeELm256EEEvT1_T0_T2_T3_.uses_vcc, 1
	.set _ZN4RAJA6policy3hip4impl18forallp_hip_kernelINS1_8hip_execINS_17iteration_mapping6DirectENS_3hip11IndexGlobalILNS_9named_dimE0ELi256ELi0EEENS7_40AvoidDeviceMaxThreadOccupancyConcretizerINS7_34FractionOffsetOccupancyConcretizerINS_8FractionImLm1ELm1EEELln1EEEEELb1EEEPlZN8rajaperf4apps14DEL_DOT_VEC_2D17runHipVariantImplILm256EEEvNSJ_9VariantIDEEUllE0_lNS_4expt15ForallParamPackIJEEES6_SA_TnNSt9enable_ifIXaasr3std10is_base_ofINS5_10DirectBaseET4_EE5valuegtsrT5_10block_sizeLi0EEmE4typeELm256EEEvT1_T0_T2_T3_.uses_flat_scratch, 0
	.set _ZN4RAJA6policy3hip4impl18forallp_hip_kernelINS1_8hip_execINS_17iteration_mapping6DirectENS_3hip11IndexGlobalILNS_9named_dimE0ELi256ELi0EEENS7_40AvoidDeviceMaxThreadOccupancyConcretizerINS7_34FractionOffsetOccupancyConcretizerINS_8FractionImLm1ELm1EEELln1EEEEELb1EEEPlZN8rajaperf4apps14DEL_DOT_VEC_2D17runHipVariantImplILm256EEEvNSJ_9VariantIDEEUllE0_lNS_4expt15ForallParamPackIJEEES6_SA_TnNSt9enable_ifIXaasr3std10is_base_ofINS5_10DirectBaseET4_EE5valuegtsrT5_10block_sizeLi0EEmE4typeELm256EEEvT1_T0_T2_T3_.has_dyn_sized_stack, 0
	.set _ZN4RAJA6policy3hip4impl18forallp_hip_kernelINS1_8hip_execINS_17iteration_mapping6DirectENS_3hip11IndexGlobalILNS_9named_dimE0ELi256ELi0EEENS7_40AvoidDeviceMaxThreadOccupancyConcretizerINS7_34FractionOffsetOccupancyConcretizerINS_8FractionImLm1ELm1EEELln1EEEEELb1EEEPlZN8rajaperf4apps14DEL_DOT_VEC_2D17runHipVariantImplILm256EEEvNSJ_9VariantIDEEUllE0_lNS_4expt15ForallParamPackIJEEES6_SA_TnNSt9enable_ifIXaasr3std10is_base_ofINS5_10DirectBaseET4_EE5valuegtsrT5_10block_sizeLi0EEmE4typeELm256EEEvT1_T0_T2_T3_.has_recursion, 0
	.set _ZN4RAJA6policy3hip4impl18forallp_hip_kernelINS1_8hip_execINS_17iteration_mapping6DirectENS_3hip11IndexGlobalILNS_9named_dimE0ELi256ELi0EEENS7_40AvoidDeviceMaxThreadOccupancyConcretizerINS7_34FractionOffsetOccupancyConcretizerINS_8FractionImLm1ELm1EEELln1EEEEELb1EEEPlZN8rajaperf4apps14DEL_DOT_VEC_2D17runHipVariantImplILm256EEEvNSJ_9VariantIDEEUllE0_lNS_4expt15ForallParamPackIJEEES6_SA_TnNSt9enable_ifIXaasr3std10is_base_ofINS5_10DirectBaseET4_EE5valuegtsrT5_10block_sizeLi0EEmE4typeELm256EEEvT1_T0_T2_T3_.has_indirect_call, 0
	.section	.AMDGPU.csdata,"",@progbits
; Kernel info:
; codeLenInByte = 1048
; TotalNumSgprs: 56
; NumVgprs: 34
; ScratchSize: 0
; MemoryBound: 0
; FloatMode: 240
; IeeeMode: 1
; LDSByteSize: 0 bytes/workgroup (compile time only)
; SGPRBlocks: 6
; VGPRBlocks: 8
; NumSGPRsForWavesPerEU: 56
; NumVGPRsForWavesPerEU: 34
; Occupancy: 7
; WaveLimiterHint : 1
; COMPUTE_PGM_RSRC2:SCRATCH_EN: 0
; COMPUTE_PGM_RSRC2:USER_SGPR: 6
; COMPUTE_PGM_RSRC2:TRAP_HANDLER: 0
; COMPUTE_PGM_RSRC2:TGID_X_EN: 1
; COMPUTE_PGM_RSRC2:TGID_Y_EN: 0
; COMPUTE_PGM_RSRC2:TGID_Z_EN: 0
; COMPUTE_PGM_RSRC2:TIDIG_COMP_CNT: 0
	.section	.AMDGPU.gpr_maximums,"",@progbits
	.set amdgpu.max_num_vgpr, 0
	.set amdgpu.max_num_agpr, 0
	.set amdgpu.max_num_sgpr, 0
	.section	.AMDGPU.csdata,"",@progbits
	.type	__hip_cuid_7ed81252ad8003d2,@object ; @__hip_cuid_7ed81252ad8003d2
	.section	.bss,"aw",@nobits
	.globl	__hip_cuid_7ed81252ad8003d2
__hip_cuid_7ed81252ad8003d2:
	.byte	0                               ; 0x0
	.size	__hip_cuid_7ed81252ad8003d2, 1

	.ident	"AMD clang version 22.0.0git (https://github.com/RadeonOpenCompute/llvm-project roc-7.2.4 26084 f58b06dce1f9c15707c5f808fd002e18c2accf7e)"
	.section	".note.GNU-stack","",@progbits
	.addrsig
	.addrsig_sym __hip_cuid_7ed81252ad8003d2
	.amdgpu_metadata
---
amdhsa.kernels:
  - .args:
      - .address_space:  global
        .offset:         0
        .size:           8
        .value_kind:     global_buffer
      - .address_space:  global
        .offset:         8
        .size:           8
        .value_kind:     global_buffer
      - .address_space:  global
        .offset:         16
        .size:           8
        .value_kind:     global_buffer
      - .address_space:  global
        .offset:         24
        .size:           8
        .value_kind:     global_buffer
      - .address_space:  global
        .offset:         32
        .size:           8
        .value_kind:     global_buffer
      - .address_space:  global
        .offset:         40
        .size:           8
        .value_kind:     global_buffer
      - .address_space:  global
        .offset:         48
        .size:           8
        .value_kind:     global_buffer
      - .address_space:  global
        .offset:         56
        .size:           8
        .value_kind:     global_buffer
      - .address_space:  global
        .offset:         64
        .size:           8
        .value_kind:     global_buffer
      - .address_space:  global
        .offset:         72
        .size:           8
        .value_kind:     global_buffer
      - .address_space:  global
        .offset:         80
        .size:           8
        .value_kind:     global_buffer
      - .address_space:  global
        .offset:         88
        .size:           8
        .value_kind:     global_buffer
      - .address_space:  global
        .offset:         96
        .size:           8
        .value_kind:     global_buffer
      - .address_space:  global
        .offset:         104
        .size:           8
        .value_kind:     global_buffer
      - .address_space:  global
        .offset:         112
        .size:           8
        .value_kind:     global_buffer
      - .address_space:  global
        .offset:         120
        .size:           8
        .value_kind:     global_buffer
      - .address_space:  global
        .offset:         128
        .size:           8
        .value_kind:     global_buffer
      - .address_space:  global
        .offset:         136
        .size:           8
        .value_kind:     global_buffer
      - .offset:         144
        .size:           8
        .value_kind:     by_value
      - .offset:         152
        .size:           8
        .value_kind:     by_value
      - .offset:         160
        .size:           8
        .value_kind:     by_value
    .group_segment_fixed_size: 0
    .kernarg_segment_align: 8
    .kernarg_segment_size: 168
    .language:       OpenCL C
    .language_version:
      - 2
      - 0
    .max_flat_workgroup_size: 256
    .name:           _ZN8rajaperf4apps11deldotvec2dILm256EEEvPdS2_S2_S2_S2_S2_S2_S2_S2_S2_S2_S2_S2_S2_S2_S2_S2_Plddl
    .private_segment_fixed_size: 0
    .sgpr_count:     56
    .sgpr_spill_count: 0
    .symbol:         _ZN8rajaperf4apps11deldotvec2dILm256EEEvPdS2_S2_S2_S2_S2_S2_S2_S2_S2_S2_S2_S2_S2_S2_S2_S2_Plddl.kd
    .uniform_work_group_size: 1
    .uses_dynamic_stack: false
    .vgpr_count:     34
    .vgpr_spill_count: 0
    .wavefront_size: 64
  - .args:
      - .offset:         0
        .size:           8
        .value_kind:     by_value
      - .offset:         8
        .size:           8
        .value_kind:     by_value
      - .offset:         16
        .size:           160
        .value_kind:     by_value
    .group_segment_fixed_size: 0
    .kernarg_segment_align: 8
    .kernarg_segment_size: 176
    .language:       OpenCL C
    .language_version:
      - 2
      - 0
    .max_flat_workgroup_size: 256
    .name:           _ZN8rajaperf17lambda_hip_forallILm256EZNS_4apps14DEL_DOT_VEC_2D17runHipVariantImplILm256EEEvNS_9VariantIDEEUllE_EEvllT0_
    .private_segment_fixed_size: 0
    .sgpr_count:     56
    .sgpr_spill_count: 0
    .symbol:         _ZN8rajaperf17lambda_hip_forallILm256EZNS_4apps14DEL_DOT_VEC_2D17runHipVariantImplILm256EEEvNS_9VariantIDEEUllE_EEvllT0_.kd
    .uniform_work_group_size: 1
    .uses_dynamic_stack: false
    .vgpr_count:     34
    .vgpr_spill_count: 0
    .wavefront_size: 64
  - .args:
      - .offset:         0
        .size:           152
        .value_kind:     by_value
      - .address_space:  global
        .offset:         152
        .size:           8
        .value_kind:     global_buffer
      - .offset:         160
        .size:           8
        .value_kind:     by_value
      - .offset:         168
        .size:           1
        .value_kind:     by_value
    .group_segment_fixed_size: 0
    .kernarg_segment_align: 8
    .kernarg_segment_size: 172
    .language:       OpenCL C
    .language_version:
      - 2
      - 0
    .max_flat_workgroup_size: 256
    .name:           _ZN4RAJA6policy3hip4impl18forallp_hip_kernelINS1_8hip_execINS_17iteration_mapping6DirectENS_3hip11IndexGlobalILNS_9named_dimE0ELi256ELi0EEENS7_40AvoidDeviceMaxThreadOccupancyConcretizerINS7_34FractionOffsetOccupancyConcretizerINS_8FractionImLm1ELm1EEELln1EEEEELb1EEEPlZN8rajaperf4apps14DEL_DOT_VEC_2D17runHipVariantImplILm256EEEvNSJ_9VariantIDEEUllE0_lNS_4expt15ForallParamPackIJEEES6_SA_TnNSt9enable_ifIXaasr3std10is_base_ofINS5_10DirectBaseET4_EE5valuegtsrT5_10block_sizeLi0EEmE4typeELm256EEEvT1_T0_T2_T3_
    .private_segment_fixed_size: 0
    .sgpr_count:     56
    .sgpr_spill_count: 0
    .symbol:         _ZN4RAJA6policy3hip4impl18forallp_hip_kernelINS1_8hip_execINS_17iteration_mapping6DirectENS_3hip11IndexGlobalILNS_9named_dimE0ELi256ELi0EEENS7_40AvoidDeviceMaxThreadOccupancyConcretizerINS7_34FractionOffsetOccupancyConcretizerINS_8FractionImLm1ELm1EEELln1EEEEELb1EEEPlZN8rajaperf4apps14DEL_DOT_VEC_2D17runHipVariantImplILm256EEEvNSJ_9VariantIDEEUllE0_lNS_4expt15ForallParamPackIJEEES6_SA_TnNSt9enable_ifIXaasr3std10is_base_ofINS5_10DirectBaseET4_EE5valuegtsrT5_10block_sizeLi0EEmE4typeELm256EEEvT1_T0_T2_T3_.kd
    .uniform_work_group_size: 1
    .uses_dynamic_stack: false
    .vgpr_count:     34
    .vgpr_spill_count: 0
    .wavefront_size: 64
amdhsa.target:   amdgcn-amd-amdhsa--gfx906
amdhsa.version:
  - 1
  - 2
...

	.end_amdgpu_metadata
